;; amdgpu-corpus repo=ROCm/rocFFT kind=compiled arch=gfx1201 opt=O3
	.text
	.amdgcn_target "amdgcn-amd-amdhsa--gfx1201"
	.amdhsa_code_object_version 6
	.protected	fft_rtc_back_len56_factors_2_7_4_wgs_128_tpt_8_dim3_dp_op_CI_CI_sbcr_dirReg ; -- Begin function fft_rtc_back_len56_factors_2_7_4_wgs_128_tpt_8_dim3_dp_op_CI_CI_sbcr_dirReg
	.globl	fft_rtc_back_len56_factors_2_7_4_wgs_128_tpt_8_dim3_dp_op_CI_CI_sbcr_dirReg
	.p2align	8
	.type	fft_rtc_back_len56_factors_2_7_4_wgs_128_tpt_8_dim3_dp_op_CI_CI_sbcr_dirReg,@function
fft_rtc_back_len56_factors_2_7_4_wgs_128_tpt_8_dim3_dp_op_CI_CI_sbcr_dirReg: ; @fft_rtc_back_len56_factors_2_7_4_wgs_128_tpt_8_dim3_dp_op_CI_CI_sbcr_dirReg
; %bb.0:
	s_load_b128 s[4:7], s[0:1], 0x8
	s_mov_b32 s2, ttmp9
	s_mov_b32 s3, 0
	s_mov_b64 s[26:27], 0
	s_wait_kmcnt 0x0
	s_load_b64 s[22:23], s[4:5], 0x8
	s_wait_kmcnt 0x0
	s_add_nc_u64 s[8:9], s[22:23], -1
	s_delay_alu instid0(SALU_CYCLE_1) | instskip(NEXT) | instid1(SALU_CYCLE_1)
	s_lshr_b64 s[8:9], s[8:9], 4
	s_add_nc_u64 s[20:21], s[8:9], 1
	s_delay_alu instid0(SALU_CYCLE_1) | instskip(NEXT) | instid1(VALU_DEP_1)
	v_cmp_lt_u64_e64 s8, s[2:3], s[20:21]
	s_and_b32 vcc_lo, exec_lo, s8
	s_cbranch_vccnz .LBB0_2
; %bb.1:
	v_cvt_f32_u32_e32 v1, s20
	s_sub_co_i32 s9, 0, s20
	s_mov_b32 s27, s3
	s_delay_alu instid0(VALU_DEP_1) | instskip(NEXT) | instid1(TRANS32_DEP_1)
	v_rcp_iflag_f32_e32 v1, v1
	v_mul_f32_e32 v1, 0x4f7ffffe, v1
	s_delay_alu instid0(VALU_DEP_1) | instskip(NEXT) | instid1(VALU_DEP_1)
	v_cvt_u32_f32_e32 v1, v1
	v_readfirstlane_b32 s8, v1
	s_delay_alu instid0(VALU_DEP_1) | instskip(NEXT) | instid1(SALU_CYCLE_1)
	s_mul_i32 s9, s9, s8
	s_mul_hi_u32 s9, s8, s9
	s_delay_alu instid0(SALU_CYCLE_1) | instskip(NEXT) | instid1(SALU_CYCLE_1)
	s_add_co_i32 s8, s8, s9
	s_mul_hi_u32 s8, s2, s8
	s_delay_alu instid0(SALU_CYCLE_1) | instskip(SKIP_2) | instid1(SALU_CYCLE_1)
	s_mul_i32 s9, s8, s20
	s_add_co_i32 s10, s8, 1
	s_sub_co_i32 s9, s2, s9
	s_sub_co_i32 s11, s9, s20
	s_cmp_ge_u32 s9, s20
	s_cselect_b32 s8, s10, s8
	s_cselect_b32 s9, s11, s9
	s_add_co_i32 s10, s8, 1
	s_cmp_ge_u32 s9, s20
	s_cselect_b32 s26, s10, s8
.LBB0_2:
	s_load_b64 s[8:9], s[4:5], 0x10
	s_load_b64 s[4:5], s[0:1], 0x18
	s_mov_b64 s[16:17], s[26:27]
	s_wait_kmcnt 0x0
	v_cmp_lt_u64_e64 s10, s[26:27], s[8:9]
	s_delay_alu instid0(VALU_DEP_1)
	s_and_b32 vcc_lo, exec_lo, s10
	s_cbranch_vccnz .LBB0_4
; %bb.3:
	v_cvt_f32_u32_e32 v1, s8
	s_sub_co_i32 s11, 0, s8
	s_mov_b32 s17, 0
	s_delay_alu instid0(VALU_DEP_1) | instskip(NEXT) | instid1(TRANS32_DEP_1)
	v_rcp_iflag_f32_e32 v1, v1
	v_mul_f32_e32 v1, 0x4f7ffffe, v1
	s_delay_alu instid0(VALU_DEP_1) | instskip(NEXT) | instid1(VALU_DEP_1)
	v_cvt_u32_f32_e32 v1, v1
	v_readfirstlane_b32 s10, v1
	s_delay_alu instid0(VALU_DEP_1) | instskip(NEXT) | instid1(SALU_CYCLE_1)
	s_mul_i32 s11, s11, s10
	s_mul_hi_u32 s11, s10, s11
	s_delay_alu instid0(SALU_CYCLE_1) | instskip(NEXT) | instid1(SALU_CYCLE_1)
	s_add_co_i32 s10, s10, s11
	s_mul_hi_u32 s10, s26, s10
	s_delay_alu instid0(SALU_CYCLE_1) | instskip(NEXT) | instid1(SALU_CYCLE_1)
	s_mul_i32 s10, s10, s8
	s_sub_co_i32 s10, s26, s10
	s_delay_alu instid0(SALU_CYCLE_1) | instskip(SKIP_2) | instid1(SALU_CYCLE_1)
	s_sub_co_i32 s11, s10, s8
	s_cmp_ge_u32 s10, s8
	s_cselect_b32 s10, s11, s10
	s_sub_co_i32 s11, s10, s8
	s_cmp_ge_u32 s10, s8
	s_cselect_b32 s16, s11, s10
.LBB0_4:
	s_clause 0x1
	s_load_b128 s[12:15], s[6:7], 0x0
	s_load_b64 s[28:29], s[6:7], 0x10
	s_mul_u64 s[8:9], s[8:9], s[20:21]
	s_mov_b64 s[18:19], 0
	s_wait_alu 0xfffe
	v_cmp_lt_u64_e64 s9, s[2:3], s[8:9]
	s_delay_alu instid0(VALU_DEP_1)
	s_and_b32 vcc_lo, exec_lo, s9
	s_cbranch_vccnz .LBB0_6
; %bb.5:
	v_cvt_f32_u32_e32 v1, s8
	s_sub_co_i32 s10, 0, s8
	s_mov_b32 s19, 0
	s_delay_alu instid0(VALU_DEP_1) | instskip(NEXT) | instid1(TRANS32_DEP_1)
	v_rcp_iflag_f32_e32 v1, v1
	v_mul_f32_e32 v1, 0x4f7ffffe, v1
	s_delay_alu instid0(VALU_DEP_1) | instskip(NEXT) | instid1(VALU_DEP_1)
	v_cvt_u32_f32_e32 v1, v1
	v_readfirstlane_b32 s9, v1
	s_delay_alu instid0(VALU_DEP_1) | instskip(NEXT) | instid1(SALU_CYCLE_1)
	s_mul_i32 s10, s10, s9
	s_mul_hi_u32 s10, s9, s10
	s_delay_alu instid0(SALU_CYCLE_1)
	s_add_co_i32 s9, s9, s10
	s_wait_alu 0xfffe
	s_mul_hi_u32 s9, s2, s9
	s_wait_alu 0xfffe
	s_mul_i32 s10, s9, s8
	s_add_co_i32 s11, s9, 1
	s_sub_co_i32 s10, s2, s10
	s_delay_alu instid0(SALU_CYCLE_1)
	s_sub_co_i32 s18, s10, s8
	s_cmp_ge_u32 s10, s8
	s_cselect_b32 s9, s11, s9
	s_cselect_b32 s10, s18, s10
	s_wait_alu 0xfffe
	s_add_co_i32 s11, s9, 1
	s_cmp_ge_u32 s10, s8
	s_cselect_b32 s18, s11, s9
.LBB0_6:
	s_load_b64 s[30:31], s[6:7], 0x18
	s_load_b256 s[4:11], s[4:5], 0x0
	s_load_b64 s[24:25], s[0:1], 0x50
	s_mul_u64 s[20:21], s[26:27], s[20:21]
	s_wait_kmcnt 0x0
	s_mul_u64 s[26:27], s[28:29], s[16:17]
	s_wait_alu 0xfffe
	s_sub_nc_u64 s[2:3], s[2:3], s[20:21]
	v_lshrrev_b32_e32 v33, 4, v0
	s_wait_alu 0xfffe
	s_lshl_b64 s[20:21], s[2:3], 4
	v_and_b32_e32 v35, 15, v0
	s_wait_alu 0xfffe
	s_add_nc_u64 s[28:29], s[20:21], 16
	s_mul_u64 s[34:35], s[14:15], s[20:21]
	v_cmp_gt_u64_e64 s3, s[28:29], s[22:23]
	v_cmp_le_u64_e64 s28, s[28:29], s[22:23]
	v_cmp_gt_u32_e64 s2, 64, v0
	v_or_b32_e32 v36, 8, v33
	v_or_b32_e32 v37, 16, v33
	s_add_nc_u64 s[26:27], s[26:27], s[34:35]
	s_and_b32 vcc_lo, exec_lo, s3
	s_mul_u64 s[30:31], s[30:31], s[18:19]
	s_wait_alu 0xfffe
	s_add_nc_u64 s[26:27], s[30:31], s[26:27]
	s_cbranch_vccnz .LBB0_10
; %bb.7:
	v_mad_co_u64_u32 v[1:2], null, s14, v35, 0
	v_mad_co_u64_u32 v[3:4], null, s12, v33, 0
	v_add_nc_u32_e32 v11, 28, v33
	v_or_b32_e32 v34, 8, v33
	s_wait_alu 0xfffe
	s_lshl_b64 s[30:31], s[26:27], 4
	v_or_b32_e32 v38, 16, v33
	s_add_nc_u64 s[30:31], s[24:25], s[30:31]
	v_mad_co_u64_u32 v[5:6], null, s12, v11, 0
	v_mad_co_u64_u32 v[7:8], null, s15, v35, v[2:3]
	v_add_nc_u32_e32 v13, 36, v33
	v_add_nc_u32_e32 v16, 44, v33
                                        ; implicit-def: $vgpr29_vgpr30
                                        ; implicit-def: $vgpr21_vgpr22
	s_delay_alu instid0(VALU_DEP_4) | instskip(NEXT) | instid1(VALU_DEP_4)
	v_mad_co_u64_u32 v[8:9], null, s13, v33, v[4:5]
	v_mov_b32_e32 v2, v7
	v_mov_b32_e32 v4, v6
	v_mad_co_u64_u32 v[9:10], null, s12, v34, 0
	s_delay_alu instid0(VALU_DEP_3) | instskip(NEXT) | instid1(VALU_DEP_3)
	v_lshlrev_b64_e32 v[1:2], 4, v[1:2]
	v_mad_co_u64_u32 v[6:7], null, s13, v11, v[4:5]
	v_mov_b32_e32 v4, v8
	v_mad_co_u64_u32 v[7:8], null, s12, v13, 0
	s_delay_alu instid0(VALU_DEP_4) | instskip(NEXT) | instid1(VALU_DEP_3)
	v_add_co_u32 v23, vcc_lo, s30, v1
	v_lshlrev_b64_e32 v[3:4], 4, v[3:4]
	v_add_co_ci_u32_e32 v24, vcc_lo, s31, v2, vcc_lo
	v_mad_co_u64_u32 v[1:2], null, s13, v34, v[10:11]
	v_mov_b32_e32 v2, v8
	v_mad_co_u64_u32 v[11:12], null, s12, v38, 0
	v_lshlrev_b64_e32 v[5:6], 4, v[5:6]
	s_delay_alu instid0(VALU_DEP_3)
	v_mad_co_u64_u32 v[13:14], null, s13, v13, v[2:3]
	v_mad_co_u64_u32 v[14:15], null, s12, v16, 0
	v_add_co_u32 v2, vcc_lo, v23, v3
	s_wait_alu 0xfffd
	v_add_co_ci_u32_e32 v3, vcc_lo, v24, v4, vcc_lo
	v_mov_b32_e32 v4, v12
	s_delay_alu instid0(VALU_DEP_4) | instskip(SKIP_1) | instid1(VALU_DEP_3)
	v_dual_mov_b32 v10, v1 :: v_dual_mov_b32 v1, v15
	v_mov_b32_e32 v8, v13
	v_mad_co_u64_u32 v[12:13], null, s13, v38, v[4:5]
	s_delay_alu instid0(VALU_DEP_3) | instskip(NEXT) | instid1(VALU_DEP_4)
	v_lshlrev_b64_e32 v[9:10], 4, v[9:10]
	v_mad_co_u64_u32 v[15:16], null, s13, v16, v[1:2]
	v_add_co_u32 v5, vcc_lo, v23, v5
	v_lshlrev_b64_e32 v[7:8], 4, v[7:8]
	s_wait_alu 0xfffd
	v_add_co_ci_u32_e32 v6, vcc_lo, v24, v6, vcc_lo
	v_add_co_u32 v9, vcc_lo, v23, v9
	v_lshlrev_b64_e32 v[11:12], 4, v[11:12]
	s_wait_alu 0xfffd
	v_add_co_ci_u32_e32 v10, vcc_lo, v24, v10, vcc_lo
	;; [unrolled: 4-line block ×3, first 2 shown]
	v_add_co_u32 v17, vcc_lo, v23, v11
	s_wait_alu 0xfffd
	v_add_co_ci_u32_e32 v18, vcc_lo, v24, v12, vcc_lo
	v_add_co_u32 v19, vcc_lo, v23, v13
	s_wait_alu 0xfffd
	v_add_co_ci_u32_e32 v20, vcc_lo, v24, v14, vcc_lo
	s_clause 0x5
	global_load_b128 v[1:4], v[2:3], off
	global_load_b128 v[25:28], v[5:6], off
	;; [unrolled: 1-line block ×6, first 2 shown]
	s_and_saveexec_b32 s3, s2
	s_cbranch_execz .LBB0_9
; %bb.8:
	v_or_b32_e32 v31, 24, v33
	v_or_b32_e32 v39, 52, v33
	s_delay_alu instid0(VALU_DEP_2) | instskip(NEXT) | instid1(VALU_DEP_2)
	v_mad_co_u64_u32 v[21:22], null, s12, v31, 0
	v_mad_co_u64_u32 v[29:30], null, s12, v39, 0
	s_delay_alu instid0(VALU_DEP_2) | instskip(NEXT) | instid1(VALU_DEP_1)
	v_mad_co_u64_u32 v[31:32], null, s13, v31, v[22:23]
	v_mad_co_u64_u32 v[39:40], null, s13, v39, v[30:31]
	v_mov_b32_e32 v22, v31
	s_delay_alu instid0(VALU_DEP_1) | instskip(NEXT) | instid1(VALU_DEP_3)
	v_lshlrev_b64_e32 v[21:22], 4, v[21:22]
	v_mov_b32_e32 v30, v39
	s_delay_alu instid0(VALU_DEP_2) | instskip(NEXT) | instid1(VALU_DEP_2)
	v_add_co_u32 v21, vcc_lo, v23, v21
	v_lshlrev_b64_e32 v[29:30], 4, v[29:30]
	s_wait_alu 0xfffd
	s_delay_alu instid0(VALU_DEP_4) | instskip(NEXT) | instid1(VALU_DEP_2)
	v_add_co_ci_u32_e32 v22, vcc_lo, v24, v22, vcc_lo
	v_add_co_u32 v29, vcc_lo, v23, v29
	s_wait_alu 0xfffd
	s_delay_alu instid0(VALU_DEP_3)
	v_add_co_ci_u32_e32 v30, vcc_lo, v24, v30, vcc_lo
	s_clause 0x1
	global_load_b128 v[21:24], v[21:22], off
	global_load_b128 v[29:32], v[29:30], off
.LBB0_9:
	s_wait_alu 0xfffe
	s_or_b32 exec_lo, exec_lo, s3
	s_load_b64 s[2:3], s[0:1], 0x0
	s_cbranch_execz .LBB0_11
	s_branch .LBB0_18
.LBB0_10:
                                        ; implicit-def: $vgpr1_vgpr2
                                        ; implicit-def: $vgpr13_vgpr14
                                        ; implicit-def: $vgpr5_vgpr6
                                        ; implicit-def: $vgpr29_vgpr30
                                        ; implicit-def: $vgpr21_vgpr22
                                        ; implicit-def: $vgpr17_vgpr18
                                        ; implicit-def: $vgpr9_vgpr10
                                        ; implicit-def: $vgpr25_vgpr26
                                        ; implicit-def: $vgpr34
                                        ; implicit-def: $vgpr38
	s_load_b64 s[2:3], s[0:1], 0x0
.LBB0_11:
	s_wait_loadcnt 0x5
	v_mov_b32_e32 v2, s21
	v_or_b32_e32 v1, s20, v35
                                        ; implicit-def: $vgpr34
                                        ; implicit-def: $vgpr38
	s_delay_alu instid0(VALU_DEP_1)
	v_cmp_le_u64_e32 vcc_lo, s[22:23], v[1:2]
	s_and_saveexec_b32 s22, vcc_lo
	s_wait_alu 0xfffe
	s_xor_b32 s22, exec_lo, s22
; %bb.12:
	v_or_b32_e32 v34, 8, v33
	v_or_b32_e32 v38, 16, v33
                                        ; implicit-def: $vgpr36
                                        ; implicit-def: $vgpr37
; %bb.13:
	s_wait_alu 0xfffe
	s_or_saveexec_b32 s22, s22
                                        ; implicit-def: $vgpr1_vgpr2
                                        ; implicit-def: $vgpr13_vgpr14
                                        ; implicit-def: $vgpr5_vgpr6
                                        ; implicit-def: $vgpr29_vgpr30
                                        ; implicit-def: $vgpr21_vgpr22
                                        ; implicit-def: $vgpr17_vgpr18
                                        ; implicit-def: $vgpr9_vgpr10
                                        ; implicit-def: $vgpr25_vgpr26
	s_wait_alu 0xfffe
	s_xor_b32 exec_lo, exec_lo, s22
	s_cbranch_execz .LBB0_17
; %bb.14:
	v_mad_co_u64_u32 v[1:2], null, s14, v35, 0
	v_mad_co_u64_u32 v[3:4], null, s12, v33, 0
	s_wait_loadcnt 0x3
	v_add_nc_u32_e32 v11, 28, v33
	s_wait_loadcnt 0x2
	v_add_nc_u32_e32 v16, 44, v33
                                        ; implicit-def: $vgpr29_vgpr30
                                        ; implicit-def: $vgpr21_vgpr22
	s_wait_loadcnt 0x1
	s_delay_alu instid0(VALU_DEP_2) | instskip(NEXT) | instid1(VALU_DEP_4)
	v_mad_co_u64_u32 v[5:6], null, s12, v11, 0
	v_mad_co_u64_u32 v[7:8], null, s15, v35, v[2:3]
	v_add_nc_u32_e32 v13, 36, v33
	s_lshl_b64 s[14:15], s[26:27], 4
	s_wait_alu 0xfffe
	s_add_nc_u64 s[14:15], s[24:25], s[14:15]
	s_delay_alu instid0(VALU_DEP_3) | instskip(NEXT) | instid1(VALU_DEP_3)
	v_mad_co_u64_u32 v[8:9], null, s13, v33, v[4:5]
	v_mov_b32_e32 v2, v7
	v_mov_b32_e32 v4, v6
	v_mad_co_u64_u32 v[9:10], null, s12, v36, 0
	s_delay_alu instid0(VALU_DEP_3) | instskip(NEXT) | instid1(VALU_DEP_3)
	v_lshlrev_b64_e32 v[1:2], 4, v[1:2]
	v_mad_co_u64_u32 v[6:7], null, s13, v11, v[4:5]
	v_mov_b32_e32 v4, v8
	v_mad_co_u64_u32 v[7:8], null, s12, v13, 0
	s_wait_alu 0xfffe
	s_delay_alu instid0(VALU_DEP_4) | instskip(NEXT) | instid1(VALU_DEP_3)
	v_add_co_u32 v23, vcc_lo, s14, v1
	v_lshlrev_b64_e32 v[3:4], 4, v[3:4]
	s_wait_alu 0xfffd
	v_add_co_ci_u32_e32 v24, vcc_lo, s15, v2, vcc_lo
	v_mad_co_u64_u32 v[1:2], null, s13, v36, v[10:11]
	v_mov_b32_e32 v2, v8
	v_mad_co_u64_u32 v[11:12], null, s12, v37, 0
	v_lshlrev_b64_e32 v[5:6], 4, v[5:6]
	s_mov_b32 s14, exec_lo
	s_delay_alu instid0(VALU_DEP_3)
	v_mad_co_u64_u32 v[13:14], null, s13, v13, v[2:3]
	v_mad_co_u64_u32 v[14:15], null, s12, v16, 0
	v_add_co_u32 v2, vcc_lo, v23, v3
	s_wait_alu 0xfffd
	v_add_co_ci_u32_e32 v3, vcc_lo, v24, v4, vcc_lo
	v_mov_b32_e32 v4, v12
	s_delay_alu instid0(VALU_DEP_4) | instskip(SKIP_1) | instid1(VALU_DEP_3)
	v_dual_mov_b32 v10, v1 :: v_dual_mov_b32 v1, v15
	v_mov_b32_e32 v8, v13
	v_mad_co_u64_u32 v[12:13], null, s13, v37, v[4:5]
	s_delay_alu instid0(VALU_DEP_3) | instskip(NEXT) | instid1(VALU_DEP_4)
	v_lshlrev_b64_e32 v[9:10], 4, v[9:10]
	v_mad_co_u64_u32 v[15:16], null, s13, v16, v[1:2]
	v_add_co_u32 v5, vcc_lo, v23, v5
	v_lshlrev_b64_e32 v[7:8], 4, v[7:8]
	s_wait_alu 0xfffd
	v_add_co_ci_u32_e32 v6, vcc_lo, v24, v6, vcc_lo
	v_add_co_u32 v9, vcc_lo, v23, v9
	v_lshlrev_b64_e32 v[11:12], 4, v[11:12]
	s_wait_alu 0xfffd
	v_add_co_ci_u32_e32 v10, vcc_lo, v24, v10, vcc_lo
	;; [unrolled: 4-line block ×3, first 2 shown]
	s_wait_loadcnt 0x0
	v_add_co_u32 v17, vcc_lo, v23, v11
	s_wait_alu 0xfffd
	v_add_co_ci_u32_e32 v18, vcc_lo, v24, v12, vcc_lo
	v_add_co_u32 v19, vcc_lo, v23, v13
	s_wait_alu 0xfffd
	v_add_co_ci_u32_e32 v20, vcc_lo, v24, v14, vcc_lo
	s_clause 0x5
	global_load_b128 v[1:4], v[2:3], off
	global_load_b128 v[25:28], v[5:6], off
	global_load_b128 v[9:12], v[9:10], off
	global_load_b128 v[13:16], v[7:8], off
	global_load_b128 v[5:8], v[17:18], off
	global_load_b128 v[17:20], v[19:20], off
	v_cmpx_gt_u32_e32 64, v0
	s_cbranch_execz .LBB0_16
; %bb.15:
	v_or_b32_e32 v31, 24, v33
	v_or_b32_e32 v34, 52, v33
	s_delay_alu instid0(VALU_DEP_2) | instskip(NEXT) | instid1(VALU_DEP_2)
	v_mad_co_u64_u32 v[21:22], null, s12, v31, 0
	v_mad_co_u64_u32 v[29:30], null, s12, v34, 0
	s_delay_alu instid0(VALU_DEP_2) | instskip(NEXT) | instid1(VALU_DEP_1)
	v_mad_co_u64_u32 v[31:32], null, s13, v31, v[22:23]
	v_mad_co_u64_u32 v[38:39], null, s13, v34, v[30:31]
	v_mov_b32_e32 v22, v31
	s_delay_alu instid0(VALU_DEP_1) | instskip(NEXT) | instid1(VALU_DEP_3)
	v_lshlrev_b64_e32 v[21:22], 4, v[21:22]
	v_mov_b32_e32 v30, v38
	s_delay_alu instid0(VALU_DEP_2) | instskip(NEXT) | instid1(VALU_DEP_2)
	v_add_co_u32 v21, vcc_lo, v23, v21
	v_lshlrev_b64_e32 v[29:30], 4, v[29:30]
	s_wait_alu 0xfffd
	s_delay_alu instid0(VALU_DEP_4) | instskip(NEXT) | instid1(VALU_DEP_2)
	v_add_co_ci_u32_e32 v22, vcc_lo, v24, v22, vcc_lo
	v_add_co_u32 v29, vcc_lo, v23, v29
	s_wait_alu 0xfffd
	s_delay_alu instid0(VALU_DEP_3)
	v_add_co_ci_u32_e32 v30, vcc_lo, v24, v30, vcc_lo
	s_clause 0x1
	global_load_b128 v[21:24], v[21:22], off
	global_load_b128 v[29:32], v[29:30], off
.LBB0_16:
	s_wait_alu 0xfffe
	s_or_b32 exec_lo, exec_lo, s14
	v_mov_b32_e32 v34, v36
	v_mov_b32_e32 v38, v37
.LBB0_17:
	s_or_b32 exec_lo, exec_lo, s22
.LBB0_18:
	s_wait_loadcnt 0x4
	v_add_f64_e64 v[25:26], v[1:2], -v[25:26]
	v_add_f64_e64 v[27:28], v[3:4], -v[27:28]
	s_wait_loadcnt 0x2
	v_add_f64_e64 v[13:14], v[9:10], -v[13:14]
	v_add_f64_e64 v[15:16], v[11:12], -v[15:16]
	;; [unrolled: 3-line block ×3, first 2 shown]
	v_lshlrev_b32_e32 v35, 4, v35
	s_mov_b32 s12, exec_lo
	v_fma_f64 v[39:40], v[1:2], 2.0, -v[25:26]
	v_fma_f64 v[41:42], v[3:4], 2.0, -v[27:28]
	v_add_f64_e64 v[1:2], v[21:22], -v[29:30]
	v_add_f64_e64 v[3:4], v[23:24], -v[31:32]
	v_fma_f64 v[9:10], v[9:10], 2.0, -v[13:14]
	v_fma_f64 v[11:12], v[11:12], 2.0, -v[15:16]
	;; [unrolled: 1-line block ×4, first 2 shown]
	v_lshl_add_u32 v5, v33, 9, 0
	v_lshl_add_u32 v6, v34, 9, 0
	v_lshl_add_u32 v7, v38, 9, 0
	v_or_b32_e32 v8, 24, v33
	s_delay_alu instid0(VALU_DEP_4) | instskip(NEXT) | instid1(VALU_DEP_4)
	v_add_nc_u32_e32 v29, v5, v35
	v_add_nc_u32_e32 v30, v6, v35
	s_delay_alu instid0(VALU_DEP_4)
	v_add_nc_u32_e32 v31, v7, v35
	ds_store_b128 v29, v[39:42]
	ds_store_b128 v29, v[25:28] offset:256
	ds_store_b128 v30, v[9:12]
	ds_store_b128 v30, v[13:16] offset:256
	;; [unrolled: 2-line block ×3, first 2 shown]
	v_cmpx_gt_u32_e32 64, v0
	s_cbranch_execz .LBB0_20
; %bb.19:
	v_fma_f64 v[11:12], v[23:24], 2.0, -v[3:4]
	v_fma_f64 v[9:10], v[21:22], 2.0, -v[1:2]
	v_lshlrev_b32_e32 v13, 9, v8
	s_delay_alu instid0(VALU_DEP_1)
	v_add3_u32 v13, 0, v13, v35
	ds_store_b128 v13, v[9:12]
	ds_store_b128 v13, v[1:4] offset:256
.LBB0_20:
	s_wait_alu 0xfffe
	s_or_b32 exec_lo, exec_lo, s12
	v_bfe_u32 v71, v0, 4, 1
	global_wb scope:SCOPE_SE
	s_wait_dscnt 0x0
	s_wait_kmcnt 0x0
	s_barrier_signal -1
	s_barrier_wait -1
	global_inv scope:SCOPE_SE
	v_mul_u32_u24_e32 v9, 6, v71
	v_lshlrev_b32_e32 v37, 8, v34
	v_lshlrev_b32_e32 v38, 8, v38
	;; [unrolled: 1-line block ×3, first 2 shown]
	s_mov_b32 s12, 0x37e14327
	v_lshlrev_b32_e32 v29, 4, v9
	v_sub_nc_u32_e32 v6, v6, v37
	v_sub_nc_u32_e32 v7, v7, v38
	;; [unrolled: 1-line block ×3, first 2 shown]
	s_mov_b32 s13, 0x3fe948f6
	s_clause 0x5
	global_load_b128 v[9:12], v29, s[2:3]
	global_load_b128 v[13:16], v29, s[2:3] offset:16
	global_load_b128 v[17:20], v29, s[2:3] offset:80
	;; [unrolled: 1-line block ×5, first 2 shown]
	v_add_nc_u32_e32 v38, v6, v35
	v_add_nc_u32_e32 v6, v7, v35
	;; [unrolled: 1-line block ×3, first 2 shown]
	ds_load_b128 v[39:42], v38
	ds_load_b128 v[43:46], v6
	ds_load_b128 v[47:50], v37 offset:12288
	ds_load_b128 v[51:54], v37 offset:10240
	v_lshlrev_b32_e32 v5, 8, v8
	s_mov_b32 s14, 0x36b3c0b5
	s_mov_b32 s22, 0xe976ee23
	;; [unrolled: 1-line block ×4, first 2 shown]
	v_add3_u32 v5, 0, v5, v35
	ds_load_b128 v[5:8], v5
	ds_load_b128 v[55:58], v37 offset:8192
	s_mov_b32 s25, 0x3fe77f67
	s_mov_b32 s24, 0x5476071b
	s_mov_b32 s27, 0xbfd5d0dc
	s_mov_b32 s26, 0xb247c609
	v_cmp_gt_u32_e32 vcc_lo, 0x60, v0
	s_wait_loadcnt_dscnt 0x505
	v_mul_f64_e32 v[59:60], v[41:42], v[11:12]
	v_mul_f64_e32 v[11:12], v[39:40], v[11:12]
	s_wait_loadcnt_dscnt 0x404
	v_mul_f64_e32 v[61:62], v[45:46], v[15:16]
	v_mul_f64_e32 v[15:16], v[43:44], v[15:16]
	;; [unrolled: 3-line block ×6, first 2 shown]
	v_fma_f64 v[39:40], v[39:40], v[9:10], v[59:60]
	v_fma_f64 v[9:10], v[41:42], v[9:10], -v[11:12]
	v_fma_f64 v[11:12], v[43:44], v[13:14], v[61:62]
	v_fma_f64 v[13:14], v[45:46], v[13:14], -v[15:16]
	;; [unrolled: 2-line block ×6, first 2 shown]
	v_add_f64_e32 v[27:28], v[39:40], v[15:16]
	v_add_f64_e32 v[29:30], v[9:10], v[17:18]
	v_add_f64_e32 v[31:32], v[11:12], v[19:20]
	v_add_f64_e32 v[41:42], v[13:14], v[21:22]
	v_add_f64_e64 v[11:12], v[11:12], -v[19:20]
	v_add_f64_e64 v[13:14], v[13:14], -v[21:22]
	v_add_f64_e32 v[43:44], v[5:6], v[23:24]
	v_add_f64_e32 v[45:46], v[7:8], v[25:26]
	v_add_f64_e64 v[19:20], v[23:24], -v[5:6]
	v_add_f64_e64 v[21:22], v[25:26], -v[7:8]
	;; [unrolled: 1-line block ×4, first 2 shown]
	v_add_f64_e32 v[5:6], v[31:32], v[27:28]
	v_add_f64_e32 v[7:8], v[41:42], v[29:30]
	v_add_f64_e64 v[17:18], v[27:28], -v[43:44]
	v_add_f64_e64 v[23:24], v[29:30], -v[45:46]
	;; [unrolled: 1-line block ×10, first 2 shown]
	v_add_f64_e32 v[11:12], v[19:20], v[11:12]
	v_add_f64_e32 v[13:14], v[21:22], v[13:14]
	v_add_f64_e64 v[31:32], v[15:16], -v[19:20]
	v_add_f64_e64 v[21:22], v[9:10], -v[21:22]
	v_add_f64_e32 v[43:44], v[43:44], v[5:6]
	v_add_f64_e32 v[45:46], v[45:46], v[7:8]
	ds_load_b128 v[5:8], v37
	global_wb scope:SCOPE_SE
	s_wait_dscnt 0x0
	s_wait_alu 0xfffe
	v_mul_f64_e32 v[41:42], s[12:13], v[17:18]
	v_mul_f64_e32 v[23:24], s[12:13], v[23:24]
	s_mov_b32 s12, 0x429ad128
	v_mul_f64_e32 v[55:56], s[14:15], v[25:26]
	v_mul_f64_e32 v[57:58], s[14:15], v[39:40]
	;; [unrolled: 1-line block ×4, first 2 shown]
	s_mov_b32 s13, 0xbfebfeb5
	s_mov_b32 s22, 0xaaaaaaaa
	s_wait_alu 0xfffe
	v_mul_f64_e32 v[59:60], s[12:13], v[51:52]
	v_mul_f64_e32 v[61:62], s[12:13], v[53:54]
	s_mov_b32 s23, 0xbff2aaaa
	s_barrier_signal -1
	s_barrier_wait -1
	global_inv scope:SCOPE_SE
	v_add_f64_e32 v[17:18], v[5:6], v[43:44]
	v_add_f64_e32 v[19:20], v[7:8], v[45:46]
	;; [unrolled: 1-line block ×4, first 2 shown]
	v_fma_f64 v[9:10], v[25:26], s[14:15], v[41:42]
	v_fma_f64 v[11:12], v[39:40], s[14:15], v[23:24]
	v_fma_f64 v[13:14], v[27:28], s[24:25], -v[55:56]
	v_fma_f64 v[15:16], v[29:30], s[24:25], -v[57:58]
	s_mov_b32 s25, 0xbfe77f67
	v_fma_f64 v[25:26], v[31:32], s[26:27], v[47:48]
	v_fma_f64 v[39:40], v[21:22], s[26:27], v[49:50]
	s_mov_b32 s27, 0x3fd5d0dc
	s_wait_alu 0xfffe
	v_fma_f64 v[27:28], v[27:28], s[24:25], -v[41:42]
	v_fma_f64 v[31:32], v[31:32], s[26:27], -v[59:60]
	;; [unrolled: 1-line block ×6, first 2 shown]
	s_mov_b32 s12, 0x37c3f68c
	s_mov_b32 s13, 0xbfdc38aa
	v_fma_f64 v[43:44], v[43:44], s[22:23], v[17:18]
	v_fma_f64 v[45:46], v[45:46], s[22:23], v[19:20]
	s_wait_alu 0xfffe
	v_fma_f64 v[41:42], v[5:6], s[12:13], v[25:26]
	v_fma_f64 v[39:40], v[7:8], s[12:13], v[39:40]
	;; [unrolled: 1-line block ×6, first 2 shown]
	v_add_f64_e32 v[55:56], v[9:10], v[43:44]
	v_add_f64_e32 v[57:58], v[11:12], v[45:46]
	v_add_f64_e32 v[9:10], v[27:28], v[43:44]
	v_add_f64_e32 v[11:12], v[23:24], v[45:46]
	v_add_f64_e32 v[5:6], v[13:14], v[43:44]
	v_add_f64_e32 v[7:8], v[15:16], v[45:46]
	v_add_f64_e32 v[21:22], v[39:40], v[55:56]
	v_add_f64_e64 v[23:24], v[57:58], -v[41:42]
	v_add_f64_e32 v[25:26], v[53:54], v[9:10]
	v_add_f64_e64 v[27:28], v[11:12], -v[51:52]
	v_add_f64_e64 v[29:30], v[5:6], -v[49:50]
	v_add_f64_e32 v[31:32], v[47:48], v[7:8]
	v_add_f64_e32 v[5:6], v[49:50], v[5:6]
	v_add_f64_e64 v[7:8], v[7:8], -v[47:48]
	v_add_f64_e64 v[9:10], v[9:10], -v[53:54]
	v_add_f64_e32 v[11:12], v[51:52], v[11:12]
	v_add_f64_e64 v[13:14], v[55:56], -v[39:40]
	v_add_f64_e32 v[15:16], v[41:42], v[57:58]
	v_lshrrev_b32_e32 v39, 5, v0
	s_delay_alu instid0(VALU_DEP_1) | instskip(NEXT) | instid1(VALU_DEP_1)
	v_mul_u32_u24_e32 v39, 14, v39
	v_or_b32_e32 v39, v39, v71
	s_delay_alu instid0(VALU_DEP_1) | instskip(NEXT) | instid1(VALU_DEP_1)
	v_lshlrev_b32_e32 v39, 8, v39
	v_add3_u32 v39, 0, v39, v35
	ds_store_b128 v39, v[17:20]
	ds_store_b128 v39, v[21:24] offset:512
	ds_store_b128 v39, v[25:28] offset:1024
	;; [unrolled: 1-line block ×6, first 2 shown]
	global_wb scope:SCOPE_SE
	s_wait_dscnt 0x0
	s_barrier_signal -1
	s_barrier_wait -1
	global_inv scope:SCOPE_SE
	ds_load_b128 v[17:20], v37
	ds_load_b128 v[29:32], v37 offset:3584
	ds_load_b128 v[25:28], v37 offset:7168
	;; [unrolled: 1-line block ×3, first 2 shown]
	s_and_saveexec_b32 s12, vcc_lo
	s_cbranch_execz .LBB0_22
; %bb.21:
	ds_load_b128 v[9:12], v37 offset:5632
	ds_load_b128 v[13:16], v37 offset:9216
	ds_load_b128 v[5:8], v38
	ds_load_b128 v[1:4], v37 offset:12800
.LBB0_22:
	s_wait_alu 0xfffe
	s_or_b32 exec_lo, exec_lo, s12
	v_mul_lo_u16 v33, v33, 3
	s_delay_alu instid0(VALU_DEP_1) | instskip(NEXT) | instid1(VALU_DEP_1)
	v_and_b32_e32 v33, 0xffff, v33
	v_lshlrev_b32_e32 v33, 4, v33
	s_clause 0x2
	global_load_b128 v[37:40], v33, s[2:3] offset:192
	global_load_b128 v[41:44], v33, s[2:3] offset:208
	;; [unrolled: 1-line block ×3, first 2 shown]
	v_add3_u32 v33, 0, v36, v35
	global_wb scope:SCOPE_SE
	s_wait_loadcnt_dscnt 0x0
	s_barrier_signal -1
	s_barrier_wait -1
	global_inv scope:SCOPE_SE
	v_mul_f64_e32 v[49:50], v[31:32], v[39:40]
	v_mul_f64_e32 v[39:40], v[29:30], v[39:40]
	;; [unrolled: 1-line block ×6, first 2 shown]
	v_fma_f64 v[29:30], v[29:30], v[37:38], v[49:50]
	v_fma_f64 v[31:32], v[31:32], v[37:38], -v[39:40]
	v_fma_f64 v[25:26], v[25:26], v[41:42], v[51:52]
	v_fma_f64 v[27:28], v[27:28], v[41:42], -v[43:44]
	;; [unrolled: 2-line block ×3, first 2 shown]
	s_delay_alu instid0(VALU_DEP_4) | instskip(NEXT) | instid1(VALU_DEP_4)
	v_add_f64_e64 v[25:26], v[17:18], -v[25:26]
	v_add_f64_e64 v[27:28], v[19:20], -v[27:28]
	s_delay_alu instid0(VALU_DEP_4) | instskip(NEXT) | instid1(VALU_DEP_4)
	v_add_f64_e64 v[37:38], v[29:30], -v[21:22]
	v_add_f64_e64 v[21:22], v[31:32], -v[23:24]
	s_delay_alu instid0(VALU_DEP_4) | instskip(NEXT) | instid1(VALU_DEP_4)
	v_fma_f64 v[39:40], v[17:18], 2.0, -v[25:26]
	v_fma_f64 v[41:42], v[19:20], 2.0, -v[27:28]
	s_delay_alu instid0(VALU_DEP_4) | instskip(NEXT) | instid1(VALU_DEP_4)
	v_fma_f64 v[19:20], v[29:30], 2.0, -v[37:38]
	v_fma_f64 v[23:24], v[31:32], 2.0, -v[21:22]
	v_add_f64_e32 v[17:18], v[25:26], v[21:22]
	s_delay_alu instid0(VALU_DEP_3) | instskip(NEXT) | instid1(VALU_DEP_3)
	v_add_f64_e64 v[21:22], v[39:40], -v[19:20]
	v_add_f64_e64 v[23:24], v[41:42], -v[23:24]
	;; [unrolled: 1-line block ×3, first 2 shown]
	s_delay_alu instid0(VALU_DEP_4) | instskip(NEXT) | instid1(VALU_DEP_4)
	v_fma_f64 v[25:26], v[25:26], 2.0, -v[17:18]
	v_fma_f64 v[29:30], v[39:40], 2.0, -v[21:22]
	s_delay_alu instid0(VALU_DEP_4) | instskip(NEXT) | instid1(VALU_DEP_4)
	v_fma_f64 v[31:32], v[41:42], 2.0, -v[23:24]
	v_fma_f64 v[27:28], v[27:28], 2.0, -v[19:20]
	ds_store_b128 v33, v[29:32]
	ds_store_b128 v33, v[25:28] offset:3584
	ds_store_b128 v33, v[21:24] offset:7168
	;; [unrolled: 1-line block ×3, first 2 shown]
	s_and_saveexec_b32 s12, vcc_lo
	s_cbranch_execz .LBB0_24
; %bb.23:
	v_lshrrev_b16 v17, 1, v34
	s_delay_alu instid0(VALU_DEP_1) | instskip(NEXT) | instid1(VALU_DEP_1)
	v_and_b32_e32 v17, 0x7f, v17
	v_mul_lo_u16 v17, 0x93, v17
	s_delay_alu instid0(VALU_DEP_1) | instskip(NEXT) | instid1(VALU_DEP_1)
	v_lshrrev_b16 v17, 10, v17
	v_mul_lo_u16 v17, v17, 14
	s_delay_alu instid0(VALU_DEP_1) | instskip(NEXT) | instid1(VALU_DEP_1)
	v_sub_nc_u16 v17, v34, v17
	v_mul_lo_u16 v17, v17, 3
	s_delay_alu instid0(VALU_DEP_1) | instskip(NEXT) | instid1(VALU_DEP_1)
	v_and_b32_e32 v17, 0xff, v17
	v_lshlrev_b32_e32 v25, 4, v17
	s_clause 0x2
	global_load_b128 v[17:20], v25, s[2:3] offset:208
	global_load_b128 v[21:24], v25, s[2:3] offset:192
	;; [unrolled: 1-line block ×3, first 2 shown]
	s_wait_loadcnt 0x2
	v_mul_f64_e32 v[29:30], v[13:14], v[19:20]
	s_wait_loadcnt 0x1
	v_mul_f64_e32 v[31:32], v[11:12], v[23:24]
	v_mul_f64_e32 v[23:24], v[9:10], v[23:24]
	s_wait_loadcnt 0x0
	v_mul_f64_e32 v[33:34], v[1:2], v[27:28]
	v_mul_f64_e32 v[19:20], v[15:16], v[19:20]
	;; [unrolled: 1-line block ×3, first 2 shown]
	v_fma_f64 v[15:16], v[15:16], v[17:18], -v[29:30]
	v_fma_f64 v[9:10], v[9:10], v[21:22], v[31:32]
	v_fma_f64 v[11:12], v[11:12], v[21:22], -v[23:24]
	v_fma_f64 v[3:4], v[3:4], v[25:26], -v[33:34]
	v_fma_f64 v[13:14], v[13:14], v[17:18], v[19:20]
	v_fma_f64 v[1:2], v[1:2], v[25:26], v[27:28]
	v_add_f64_e64 v[15:16], v[7:8], -v[15:16]
	s_delay_alu instid0(VALU_DEP_4) | instskip(NEXT) | instid1(VALU_DEP_4)
	v_add_f64_e64 v[17:18], v[11:12], -v[3:4]
	v_add_f64_e64 v[19:20], v[5:6], -v[13:14]
	s_delay_alu instid0(VALU_DEP_4) | instskip(NEXT) | instid1(VALU_DEP_4)
	v_add_f64_e64 v[1:2], v[9:10], -v[1:2]
	v_fma_f64 v[13:14], v[7:8], 2.0, -v[15:16]
	s_delay_alu instid0(VALU_DEP_4) | instskip(NEXT) | instid1(VALU_DEP_4)
	v_fma_f64 v[7:8], v[11:12], 2.0, -v[17:18]
	v_fma_f64 v[21:22], v[5:6], 2.0, -v[19:20]
	s_delay_alu instid0(VALU_DEP_4) | instskip(SKIP_3) | instid1(VALU_DEP_1)
	v_fma_f64 v[5:6], v[9:10], 2.0, -v[1:2]
	v_add_f64_e64 v[3:4], v[15:16], -v[1:2]
	v_add_f64_e32 v[1:2], v[19:20], v[17:18]
	v_and_b32_e32 v17, 0x70, v0
	v_lshlrev_b32_e32 v17, 4, v17
	s_delay_alu instid0(VALU_DEP_1) | instskip(SKIP_4) | instid1(VALU_DEP_4)
	v_add3_u32 v17, 0, v17, v35
	v_add_f64_e64 v[7:8], v[13:14], -v[7:8]
	v_add_f64_e64 v[5:6], v[21:22], -v[5:6]
	v_fma_f64 v[11:12], v[15:16], 2.0, -v[3:4]
	v_fma_f64 v[9:10], v[19:20], 2.0, -v[1:2]
	;; [unrolled: 1-line block ×3, first 2 shown]
	s_delay_alu instid0(VALU_DEP_4)
	v_fma_f64 v[13:14], v[21:22], 2.0, -v[5:6]
	ds_store_b128 v17, v[13:16] offset:2048
	ds_store_b128 v17, v[9:12] offset:5632
	;; [unrolled: 1-line block ×4, first 2 shown]
.LBB0_24:
	s_wait_alu 0xfffe
	s_or_b32 exec_lo, exec_lo, s12
	s_load_b64 s[0:1], s[0:1], 0x58
	s_mul_u64 s[2:3], s[6:7], s[20:21]
	s_mul_u64 s[8:9], s[8:9], s[16:17]
	s_and_b32 vcc_lo, exec_lo, s28
	s_wait_alu 0xfffe
	s_add_nc_u64 s[2:3], s[8:9], s[2:3]
	s_mul_u64 s[8:9], s[10:11], s[18:19]
	s_mov_b32 s10, -1
	s_wait_alu 0xfffe
	s_add_nc_u64 s[2:3], s[8:9], s[2:3]
	global_wb scope:SCOPE_SE
	s_wait_dscnt 0x0
	s_wait_kmcnt 0x0
	s_barrier_signal -1
	s_barrier_wait -1
	global_inv scope:SCOPE_SE
	s_cbranch_vccz .LBB0_26
; %bb.25:
	v_mul_u32_u24_e32 v1, 0x493, v0
	v_or_b32_e32 v8, 0x100, v0
	v_or_b32_e32 v5, 0x80, v0
	s_wait_alu 0xfffe
	s_lshl_b64 s[8:9], s[2:3], 4
	v_or_b32_e32 v22, 0x180, v0
	v_lshrrev_b32_e32 v7, 16, v1
	v_and_b32_e32 v4, 0xffff, v8
	s_wait_alu 0xfffe
	s_add_nc_u64 s[8:9], s[0:1], s[8:9]
	s_mov_b32 s10, 0
	v_and_b32_e32 v24, 0xffff, v22
	v_mul_lo_u16 v3, v7, 56
	s_delay_alu instid0(VALU_DEP_1) | instskip(SKIP_1) | instid1(VALU_DEP_2)
	v_sub_nc_u16 v9, v0, v3
	v_mul_u32_u24_e32 v3, 0x493, v4
	v_and_b32_e32 v12, 0xffff, v9
	s_delay_alu instid0(VALU_DEP_2) | instskip(SKIP_1) | instid1(VALU_DEP_3)
	v_lshrrev_b32_e32 v20, 16, v3
	v_lshlrev_b16 v13, 4, v9
	v_mad_co_u64_u32 v[3:4], null, s4, v12, 0
	v_and_b32_e32 v1, 0xffff, v5
	s_delay_alu instid0(VALU_DEP_4) | instskip(SKIP_1) | instid1(VALU_DEP_3)
	v_mul_lo_u16 v14, v20, 56
	v_mad_co_u64_u32 v[17:18], null, s6, v20, 0
	v_mul_u32_u24_e32 v6, 0x493, v1
	v_mad_co_u64_u32 v[1:2], null, s6, v7, 0
	s_delay_alu instid0(VALU_DEP_4) | instskip(NEXT) | instid1(VALU_DEP_3)
	v_sub_nc_u16 v19, v8, v14
	v_lshrrev_b32_e32 v11, 16, v6
	s_delay_alu instid0(VALU_DEP_2) | instskip(NEXT) | instid1(VALU_DEP_2)
	v_and_b32_e32 v21, 0xffff, v19
	v_mul_lo_u16 v6, v11, 56
	v_mad_co_u64_u32 v[9:10], null, s6, v11, 0
	s_delay_alu instid0(VALU_DEP_2) | instskip(SKIP_3) | instid1(VALU_DEP_4)
	v_sub_nc_u16 v15, v5, v6
	v_mad_co_u64_u32 v[5:6], null, s7, v7, v[2:3]
	v_mov_b32_e32 v2, v4
	v_or_b32_e32 v4, v13, v7
	v_and_b32_e32 v13, 0xffff, v15
	s_delay_alu instid0(VALU_DEP_3) | instskip(SKIP_1) | instid1(VALU_DEP_3)
	v_mad_co_u64_u32 v[6:7], null, s5, v12, v[2:3]
	v_mov_b32_e32 v2, v5
	v_mad_co_u64_u32 v[7:8], null, s4, v13, 0
	v_lshlrev_b16 v12, 4, v15
	v_and_b32_e32 v14, 0xffff, v4
	s_delay_alu instid0(VALU_DEP_4) | instskip(SKIP_4) | instid1(VALU_DEP_4)
	v_lshlrev_b64_e32 v[1:2], 4, v[1:2]
	v_mov_b32_e32 v4, v6
	v_mad_co_u64_u32 v[5:6], null, s7, v11, v[10:11]
	v_or_b32_e32 v12, v12, v11
	v_mov_b32_e32 v6, v8
	v_lshlrev_b64_e32 v[3:4], 4, v[3:4]
	v_lshl_add_u32 v15, v14, 4, 0
	s_delay_alu instid0(VALU_DEP_4) | instskip(NEXT) | instid1(VALU_DEP_4)
	v_and_b32_e32 v8, 0xffff, v12
	v_mad_co_u64_u32 v[11:12], null, s5, v13, v[6:7]
	s_wait_alu 0xfffe
	s_delay_alu instid0(VALU_DEP_4)
	v_add_co_u32 v3, vcc_lo, s8, v3
	v_mov_b32_e32 v10, v5
	v_lshl_add_u32 v5, v8, 4, 0
	s_wait_alu 0xfffd
	v_add_co_ci_u32_e32 v4, vcc_lo, s9, v4, vcc_lo
	v_mov_b32_e32 v8, v11
	v_add_co_u32 v11, vcc_lo, v3, v1
	s_wait_alu 0xfffd
	s_delay_alu instid0(VALU_DEP_3) | instskip(NEXT) | instid1(VALU_DEP_3)
	v_add_co_ci_u32_e32 v12, vcc_lo, v4, v2, vcc_lo
	v_lshlrev_b64_e32 v[13:14], 4, v[7:8]
	ds_load_b128 v[1:4], v15
	ds_load_b128 v[5:8], v5
	v_mad_co_u64_u32 v[15:16], null, s4, v21, 0
	v_lshlrev_b64_e32 v[9:10], 4, v[9:10]
	v_add_co_u32 v23, vcc_lo, s8, v13
	s_wait_alu 0xfffd
	v_add_co_ci_u32_e32 v14, vcc_lo, s9, v14, vcc_lo
	s_delay_alu instid0(VALU_DEP_4)
	v_mov_b32_e32 v13, v16
	v_mul_u32_u24_e32 v16, 0x493, v24
	v_add_co_u32 v9, vcc_lo, v23, v9
	s_wait_alu 0xfffd
	v_add_co_ci_u32_e32 v10, vcc_lo, v14, v10, vcc_lo
	v_mad_co_u64_u32 v[13:14], null, s5, v21, v[13:14]
	v_mov_b32_e32 v14, v18
	v_lshrrev_b32_e32 v21, 16, v16
	v_or_b32_e32 v23, 0x200, v0
	v_lshlrev_b16 v16, 4, v19
	s_wait_dscnt 0x1
	global_store_b128 v[11:12], v[1:4], off
	v_mad_co_u64_u32 v[18:19], null, s7, v20, v[14:15]
	v_mul_lo_u16 v14, v21, 56
	v_and_b32_e32 v1, 0xffff, v23
	v_or_b32_e32 v16, v16, v20
	s_wait_dscnt 0x0
	global_store_b128 v[9:10], v[5:8], off
	v_mad_co_u64_u32 v[11:12], null, s6, v21, 0
	v_sub_nc_u16 v3, v22, v14
	v_mul_u32_u24_e32 v4, 0x493, v1
	v_and_b32_e32 v2, 0xffff, v16
	s_delay_alu instid0(VALU_DEP_3) | instskip(NEXT) | instid1(VALU_DEP_3)
	v_dual_mov_b32 v16, v13 :: v_dual_and_b32 v5, 0xffff, v3
	v_lshrrev_b32_e32 v19, 16, v4
	s_delay_alu instid0(VALU_DEP_3) | instskip(NEXT) | instid1(VALU_DEP_3)
	v_lshl_add_u32 v7, v2, 4, 0
	v_lshlrev_b64_e32 v[1:2], 4, v[15:16]
	v_lshlrev_b16 v6, 4, v3
	v_mad_co_u64_u32 v[9:10], null, s4, v5, 0
	v_mul_lo_u16 v4, v19, 56
	s_delay_alu instid0(VALU_DEP_4)
	v_add_co_u32 v8, vcc_lo, s8, v1
	s_wait_alu 0xfffd
	v_add_co_ci_u32_e32 v15, vcc_lo, s9, v2, vcc_lo
	v_lshlrev_b64_e32 v[1:2], 4, v[17:18]
	v_mov_b32_e32 v3, v10
	v_sub_nc_u16 v17, v23, v4
	v_mov_b32_e32 v4, v12
	v_or_b32_e32 v10, v6, v21
	v_or_b32_e32 v18, 0x280, v0
	s_delay_alu instid0(VALU_DEP_4) | instskip(NEXT) | instid1(VALU_DEP_4)
	v_and_b32_e32 v16, 0xffff, v17
	v_mad_co_u64_u32 v[5:6], null, s5, v5, v[3:4]
	s_delay_alu instid0(VALU_DEP_3) | instskip(NEXT) | instid1(VALU_DEP_3)
	v_and_b32_e32 v20, 0xffff, v18
	v_mad_co_u64_u32 v[13:14], null, s4, v16, 0
	s_delay_alu instid0(VALU_DEP_3)
	v_mad_co_u64_u32 v[3:4], null, s7, v21, v[4:5]
	v_and_b32_e32 v4, 0xffff, v10
	v_mov_b32_e32 v10, v5
	v_add_co_u32 v21, vcc_lo, v8, v1
	s_wait_alu 0xfffd
	v_add_co_ci_u32_e32 v22, vcc_lo, v15, v2, vcc_lo
	s_delay_alu instid0(VALU_DEP_3) | instskip(SKIP_3) | instid1(VALU_DEP_4)
	v_lshlrev_b64_e32 v[9:10], 4, v[9:10]
	v_mov_b32_e32 v12, v3
	v_mad_co_u64_u32 v[14:15], null, s5, v16, v[14:15]
	v_mad_co_u64_u32 v[15:16], null, s6, v19, 0
	v_add_co_u32 v23, vcc_lo, s8, v9
	s_wait_alu 0xfffd
	v_add_co_ci_u32_e32 v24, vcc_lo, s9, v10, vcc_lo
	v_lshlrev_b64_e32 v[9:10], 4, v[11:12]
	v_mul_u32_u24_e32 v12, 0x493, v20
	v_or_b32_e32 v20, 0x300, v0
	v_mov_b32_e32 v11, v16
	v_lshlrev_b16 v16, 4, v17
	v_lshl_add_u32 v6, v4, 4, 0
	v_lshrrev_b32_e32 v29, 16, v12
	v_and_b32_e32 v17, 0xffff, v20
	v_mad_co_u64_u32 v[11:12], null, s7, v19, v[11:12]
	v_or_b32_e32 v12, v16, v19
	s_delay_alu instid0(VALU_DEP_4) | instskip(NEXT) | instid1(VALU_DEP_4)
	v_mul_lo_u16 v16, v29, 56
	v_mul_u32_u24_e32 v17, 0x493, v17
	v_add_co_u32 v23, vcc_lo, v23, v9
	s_wait_alu 0xfffd
	v_add_co_ci_u32_e32 v24, vcc_lo, v24, v10, vcc_lo
	v_sub_nc_u16 v19, v18, v16
	v_lshlrev_b64_e32 v[9:10], 4, v[13:14]
	v_and_b32_e32 v12, 0xffff, v12
	v_lshrrev_b32_e32 v33, 16, v17
	s_delay_alu instid0(VALU_DEP_4) | instskip(SKIP_1) | instid1(VALU_DEP_4)
	v_dual_mov_b32 v16, v11 :: v_dual_and_b32 v11, 0xffff, v19
	v_mad_co_u64_u32 v[25:26], null, s6, v29, 0
	v_lshl_add_u32 v13, v12, 4, 0
	s_delay_alu instid0(VALU_DEP_4)
	v_mul_lo_u16 v12, v33, 56
	v_add_co_u32 v14, vcc_lo, s8, v9
	s_wait_alu 0xfffd
	v_add_co_ci_u32_e32 v28, vcc_lo, s9, v10, vcc_lo
	v_lshlrev_b64_e32 v[9:10], 4, v[15:16]
	v_mad_co_u64_u32 v[17:18], null, s4, v11, 0
	v_sub_nc_u16 v15, v20, v12
	v_lshlrev_b16 v12, 4, v19
	ds_load_b128 v[1:4], v7
	ds_load_b128 v[5:8], v6
	v_add_co_u32 v27, vcc_lo, v14, v9
	s_wait_alu 0xfffd
	v_add_co_ci_u32_e32 v28, vcc_lo, v28, v10, vcc_lo
	v_or_b32_e32 v12, v12, v29
	v_dual_mov_b32 v9, v18 :: v_dual_mov_b32 v10, v26
	v_and_b32_e32 v16, 0xffff, v15
	s_delay_alu instid0(VALU_DEP_3) | instskip(NEXT) | instid1(VALU_DEP_3)
	v_and_b32_e32 v14, 0xffff, v12
	v_mad_co_u64_u32 v[11:12], null, s5, v11, v[9:10]
	s_delay_alu instid0(VALU_DEP_3) | instskip(SKIP_1) | instid1(VALU_DEP_4)
	v_mad_co_u64_u32 v[19:20], null, s4, v16, 0
	v_lshlrev_b16 v12, 4, v15
	v_lshl_add_u32 v14, v14, 4, 0
	s_delay_alu instid0(VALU_DEP_4) | instskip(NEXT) | instid1(VALU_DEP_4)
	v_mad_co_u64_u32 v[9:10], null, s7, v29, v[10:11]
	v_mov_b32_e32 v10, v20
	s_delay_alu instid0(VALU_DEP_4) | instskip(SKIP_2) | instid1(VALU_DEP_4)
	v_or_b32_e32 v20, v12, v33
	v_mad_co_u64_u32 v[29:30], null, s6, v33, 0
	v_mov_b32_e32 v18, v11
	v_mad_co_u64_u32 v[31:32], null, s5, v16, v[10:11]
	s_delay_alu instid0(VALU_DEP_4) | instskip(SKIP_1) | instid1(VALU_DEP_4)
	v_and_b32_e32 v32, 0xffff, v20
	v_mov_b32_e32 v26, v9
	v_lshlrev_b64_e32 v[17:18], 4, v[17:18]
	ds_load_b128 v[9:12], v13
	ds_load_b128 v[13:16], v14
	v_mov_b32_e32 v20, v31
	v_mad_co_u64_u32 v[30:31], null, s7, v33, v[30:31]
	v_lshl_add_u32 v33, v32, 4, 0
	v_add_co_u32 v34, vcc_lo, s8, v17
	s_delay_alu instid0(VALU_DEP_4)
	v_lshlrev_b64_e32 v[31:32], 4, v[19:20]
	s_wait_alu 0xfffd
	v_add_co_ci_u32_e32 v35, vcc_lo, s9, v18, vcc_lo
	ds_load_b128 v[17:20], v33
	v_lshlrev_b64_e32 v[25:26], 4, v[25:26]
	v_lshlrev_b64_e32 v[29:30], 4, v[29:30]
	v_add_co_u32 v31, vcc_lo, s8, v31
	s_wait_alu 0xfffd
	v_add_co_ci_u32_e32 v32, vcc_lo, s9, v32, vcc_lo
	s_delay_alu instid0(VALU_DEP_4)
	v_add_co_u32 v25, vcc_lo, v34, v25
	s_wait_alu 0xfffd
	v_add_co_ci_u32_e32 v26, vcc_lo, v35, v26, vcc_lo
	v_add_co_u32 v29, vcc_lo, v31, v29
	s_wait_alu 0xfffd
	v_add_co_ci_u32_e32 v30, vcc_lo, v32, v30, vcc_lo
	s_wait_dscnt 0x4
	global_store_b128 v[21:22], v[1:4], off
	s_wait_dscnt 0x3
	global_store_b128 v[23:24], v[5:8], off
	;; [unrolled: 2-line block ×5, first 2 shown]
.LBB0_26:
	s_and_not1_b32 vcc_lo, exec_lo, s10
	s_wait_alu 0xfffe
	s_cbranch_vccnz .LBB0_30
; %bb.27:
	s_mov_b32 s8, exec_lo
	v_cmpx_gt_u32_e32 0x380, v0
	s_cbranch_execz .LBB0_30
; %bb.28:
	s_lshl_b64 s[2:3], s[2:3], 4
	s_wait_alu 0xfffe
	s_add_nc_u64 s[2:3], s[0:1], s[2:3]
	s_mov_b32 s1, 0
.LBB0_29:                               ; =>This Inner Loop Header: Depth=1
	v_lshrrev_b16 v1, 3, v0
	s_delay_alu instid0(VALU_DEP_1) | instskip(NEXT) | instid1(VALU_DEP_1)
	v_and_b32_e32 v1, 0xffff, v1
	v_mul_u32_u24_e32 v1, 0x2493, v1
	s_delay_alu instid0(VALU_DEP_1) | instskip(NEXT) | instid1(VALU_DEP_1)
	v_lshrrev_b32_e32 v4, 16, v1
	v_mul_lo_u16 v1, v4, 56
	v_mad_co_u64_u32 v[5:6], null, s6, v4, 0
	s_delay_alu instid0(VALU_DEP_2) | instskip(SKIP_1) | instid1(VALU_DEP_2)
	v_sub_nc_u16 v2, v0, v1
	v_add_nc_u32_e32 v0, 0x80, v0
	v_and_b32_e32 v3, 0xffff, v2
	v_lshlrev_b16 v2, 4, v2
	s_delay_alu instid0(VALU_DEP_2) | instskip(NEXT) | instid1(VALU_DEP_2)
	v_mad_co_u64_u32 v[7:8], null, s4, v3, 0
	v_add_nc_u16 v2, v2, v4
	s_delay_alu instid0(VALU_DEP_1) | instskip(NEXT) | instid1(VALU_DEP_3)
	v_dual_mov_b32 v1, v6 :: v_dual_and_b32 v6, 0xffff, v2
	v_mov_b32_e32 v2, v8
	s_delay_alu instid0(VALU_DEP_2) | instskip(NEXT) | instid1(VALU_DEP_2)
	v_lshl_add_u32 v6, v6, 4, 0
	v_mad_co_u64_u32 v[2:3], null, s5, v3, v[2:3]
	s_delay_alu instid0(VALU_DEP_1)
	v_mad_co_u64_u32 v[9:10], null, s7, v4, v[1:2]
	v_mov_b32_e32 v8, v2
	ds_load_b128 v[1:4], v6
	v_lshlrev_b64_e32 v[7:8], 4, v[7:8]
	v_mov_b32_e32 v6, v9
	s_wait_alu 0xfffe
	s_delay_alu instid0(VALU_DEP_2) | instskip(NEXT) | instid1(VALU_DEP_2)
	v_add_co_u32 v7, vcc_lo, s2, v7
	v_lshlrev_b64_e32 v[5:6], 4, v[5:6]
	s_wait_alu 0xfffd
	v_add_co_ci_u32_e32 v8, vcc_lo, s3, v8, vcc_lo
	v_cmp_lt_u32_e32 vcc_lo, 0x37f, v0
	s_delay_alu instid0(VALU_DEP_3) | instskip(SKIP_1) | instid1(VALU_DEP_3)
	v_add_co_u32 v5, s0, v7, v5
	s_wait_alu 0xf1ff
	v_add_co_ci_u32_e64 v6, s0, v8, v6, s0
	s_or_b32 s1, vcc_lo, s1
	s_wait_dscnt 0x0
	global_store_b128 v[5:6], v[1:4], off
	s_wait_alu 0xfffe
	s_and_not1_b32 exec_lo, exec_lo, s1
	s_cbranch_execnz .LBB0_29
.LBB0_30:
	s_nop 0
	s_sendmsg sendmsg(MSG_DEALLOC_VGPRS)
	s_endpgm
	.section	.rodata,"a",@progbits
	.p2align	6, 0x0
	.amdhsa_kernel fft_rtc_back_len56_factors_2_7_4_wgs_128_tpt_8_dim3_dp_op_CI_CI_sbcr_dirReg
		.amdhsa_group_segment_fixed_size 0
		.amdhsa_private_segment_fixed_size 0
		.amdhsa_kernarg_size 96
		.amdhsa_user_sgpr_count 2
		.amdhsa_user_sgpr_dispatch_ptr 0
		.amdhsa_user_sgpr_queue_ptr 0
		.amdhsa_user_sgpr_kernarg_segment_ptr 1
		.amdhsa_user_sgpr_dispatch_id 0
		.amdhsa_user_sgpr_private_segment_size 0
		.amdhsa_wavefront_size32 1
		.amdhsa_uses_dynamic_stack 0
		.amdhsa_enable_private_segment 0
		.amdhsa_system_sgpr_workgroup_id_x 1
		.amdhsa_system_sgpr_workgroup_id_y 0
		.amdhsa_system_sgpr_workgroup_id_z 0
		.amdhsa_system_sgpr_workgroup_info 0
		.amdhsa_system_vgpr_workitem_id 0
		.amdhsa_next_free_vgpr 72
		.amdhsa_next_free_sgpr 36
		.amdhsa_reserve_vcc 1
		.amdhsa_float_round_mode_32 0
		.amdhsa_float_round_mode_16_64 0
		.amdhsa_float_denorm_mode_32 3
		.amdhsa_float_denorm_mode_16_64 3
		.amdhsa_fp16_overflow 0
		.amdhsa_workgroup_processor_mode 1
		.amdhsa_memory_ordered 1
		.amdhsa_forward_progress 0
		.amdhsa_round_robin_scheduling 0
		.amdhsa_exception_fp_ieee_invalid_op 0
		.amdhsa_exception_fp_denorm_src 0
		.amdhsa_exception_fp_ieee_div_zero 0
		.amdhsa_exception_fp_ieee_overflow 0
		.amdhsa_exception_fp_ieee_underflow 0
		.amdhsa_exception_fp_ieee_inexact 0
		.amdhsa_exception_int_div_zero 0
	.end_amdhsa_kernel
	.text
.Lfunc_end0:
	.size	fft_rtc_back_len56_factors_2_7_4_wgs_128_tpt_8_dim3_dp_op_CI_CI_sbcr_dirReg, .Lfunc_end0-fft_rtc_back_len56_factors_2_7_4_wgs_128_tpt_8_dim3_dp_op_CI_CI_sbcr_dirReg
                                        ; -- End function
	.section	.AMDGPU.csdata,"",@progbits
; Kernel info:
; codeLenInByte = 6132
; NumSgprs: 38
; NumVgprs: 72
; ScratchSize: 0
; MemoryBound: 1
; FloatMode: 240
; IeeeMode: 1
; LDSByteSize: 0 bytes/workgroup (compile time only)
; SGPRBlocks: 4
; VGPRBlocks: 8
; NumSGPRsForWavesPerEU: 38
; NumVGPRsForWavesPerEU: 72
; Occupancy: 16
; WaveLimiterHint : 1
; COMPUTE_PGM_RSRC2:SCRATCH_EN: 0
; COMPUTE_PGM_RSRC2:USER_SGPR: 2
; COMPUTE_PGM_RSRC2:TRAP_HANDLER: 0
; COMPUTE_PGM_RSRC2:TGID_X_EN: 1
; COMPUTE_PGM_RSRC2:TGID_Y_EN: 0
; COMPUTE_PGM_RSRC2:TGID_Z_EN: 0
; COMPUTE_PGM_RSRC2:TIDIG_COMP_CNT: 0
	.text
	.p2alignl 7, 3214868480
	.fill 96, 4, 3214868480
	.type	__hip_cuid_e7347933d8ae79c0,@object ; @__hip_cuid_e7347933d8ae79c0
	.section	.bss,"aw",@nobits
	.globl	__hip_cuid_e7347933d8ae79c0
__hip_cuid_e7347933d8ae79c0:
	.byte	0                               ; 0x0
	.size	__hip_cuid_e7347933d8ae79c0, 1

	.ident	"AMD clang version 19.0.0git (https://github.com/RadeonOpenCompute/llvm-project roc-6.4.0 25133 c7fe45cf4b819c5991fe208aaa96edf142730f1d)"
	.section	".note.GNU-stack","",@progbits
	.addrsig
	.addrsig_sym __hip_cuid_e7347933d8ae79c0
	.amdgpu_metadata
---
amdhsa.kernels:
  - .args:
      - .actual_access:  read_only
        .address_space:  global
        .offset:         0
        .size:           8
        .value_kind:     global_buffer
      - .actual_access:  read_only
        .address_space:  global
        .offset:         8
        .size:           8
        .value_kind:     global_buffer
      - .actual_access:  read_only
        .address_space:  global
        .offset:         16
        .size:           8
        .value_kind:     global_buffer
      - .actual_access:  read_only
        .address_space:  global
        .offset:         24
        .size:           8
        .value_kind:     global_buffer
      - .offset:         32
        .size:           8
        .value_kind:     by_value
      - .actual_access:  read_only
        .address_space:  global
        .offset:         40
        .size:           8
        .value_kind:     global_buffer
      - .actual_access:  read_only
        .address_space:  global
        .offset:         48
        .size:           8
        .value_kind:     global_buffer
      - .offset:         56
        .size:           4
        .value_kind:     by_value
      - .actual_access:  read_only
        .address_space:  global
        .offset:         64
        .size:           8
        .value_kind:     global_buffer
      - .actual_access:  read_only
        .address_space:  global
        .offset:         72
        .size:           8
        .value_kind:     global_buffer
      - .actual_access:  read_only
        .address_space:  global
        .offset:         80
        .size:           8
        .value_kind:     global_buffer
      - .actual_access:  write_only
        .address_space:  global
        .offset:         88
        .size:           8
        .value_kind:     global_buffer
    .group_segment_fixed_size: 0
    .kernarg_segment_align: 8
    .kernarg_segment_size: 96
    .language:       OpenCL C
    .language_version:
      - 2
      - 0
    .max_flat_workgroup_size: 128
    .name:           fft_rtc_back_len56_factors_2_7_4_wgs_128_tpt_8_dim3_dp_op_CI_CI_sbcr_dirReg
    .private_segment_fixed_size: 0
    .sgpr_count:     38
    .sgpr_spill_count: 0
    .symbol:         fft_rtc_back_len56_factors_2_7_4_wgs_128_tpt_8_dim3_dp_op_CI_CI_sbcr_dirReg.kd
    .uniform_work_group_size: 1
    .uses_dynamic_stack: false
    .vgpr_count:     72
    .vgpr_spill_count: 0
    .wavefront_size: 32
    .workgroup_processor_mode: 1
amdhsa.target:   amdgcn-amd-amdhsa--gfx1201
amdhsa.version:
  - 1
  - 2
...

	.end_amdgpu_metadata
